;; amdgpu-corpus repo=ROCm/rocFFT kind=compiled arch=gfx1030 opt=O3
	.text
	.amdgcn_target "amdgcn-amd-amdhsa--gfx1030"
	.amdhsa_code_object_version 6
	.protected	fft_rtc_fwd_len400_factors_4_10_10_wgs_120_tpt_40_halfLds_sp_ip_CI_unitstride_sbrr_R2C_dirReg ; -- Begin function fft_rtc_fwd_len400_factors_4_10_10_wgs_120_tpt_40_halfLds_sp_ip_CI_unitstride_sbrr_R2C_dirReg
	.globl	fft_rtc_fwd_len400_factors_4_10_10_wgs_120_tpt_40_halfLds_sp_ip_CI_unitstride_sbrr_R2C_dirReg
	.p2align	8
	.type	fft_rtc_fwd_len400_factors_4_10_10_wgs_120_tpt_40_halfLds_sp_ip_CI_unitstride_sbrr_R2C_dirReg,@function
fft_rtc_fwd_len400_factors_4_10_10_wgs_120_tpt_40_halfLds_sp_ip_CI_unitstride_sbrr_R2C_dirReg: ; @fft_rtc_fwd_len400_factors_4_10_10_wgs_120_tpt_40_halfLds_sp_ip_CI_unitstride_sbrr_R2C_dirReg
; %bb.0:
	s_load_dwordx4 s[8:11], s[4:5], 0x0
	v_mul_u32_u24_e32 v1, 0x667, v0
	s_clause 0x1
	s_load_dwordx2 s[2:3], s[4:5], 0x50
	s_load_dwordx2 s[12:13], s[4:5], 0x18
	v_mov_b32_e32 v5, 0
	v_mov_b32_e32 v3, 0
	;; [unrolled: 1-line block ×3, first 2 shown]
	v_lshrrev_b32_e32 v1, 16, v1
	v_mad_u64_u32 v[1:2], null, s6, 3, v[1:2]
	v_mov_b32_e32 v2, v5
	v_mov_b32_e32 v10, v2
	;; [unrolled: 1-line block ×3, first 2 shown]
	s_waitcnt lgkmcnt(0)
	v_cmp_lt_u64_e64 s0, s[10:11], 2
	s_and_b32 vcc_lo, exec_lo, s0
	s_cbranch_vccnz .LBB0_8
; %bb.1:
	s_load_dwordx2 s[0:1], s[4:5], 0x10
	v_mov_b32_e32 v3, 0
	v_mov_b32_e32 v8, v2
	s_add_u32 s6, s12, 8
	v_mov_b32_e32 v4, 0
	v_mov_b32_e32 v7, v1
	s_addc_u32 s7, s13, 0
	s_mov_b64 s[16:17], 1
	s_waitcnt lgkmcnt(0)
	s_add_u32 s14, s0, 8
	s_addc_u32 s15, s1, 0
.LBB0_2:                                ; =>This Inner Loop Header: Depth=1
	s_load_dwordx2 s[18:19], s[14:15], 0x0
                                        ; implicit-def: $vgpr9_vgpr10
	s_mov_b32 s0, exec_lo
	s_waitcnt lgkmcnt(0)
	v_or_b32_e32 v6, s19, v8
	v_cmpx_ne_u64_e32 0, v[5:6]
	s_xor_b32 s1, exec_lo, s0
	s_cbranch_execz .LBB0_4
; %bb.3:                                ;   in Loop: Header=BB0_2 Depth=1
	v_cvt_f32_u32_e32 v2, s18
	v_cvt_f32_u32_e32 v6, s19
	s_sub_u32 s0, 0, s18
	s_subb_u32 s20, 0, s19
	v_fmac_f32_e32 v2, 0x4f800000, v6
	v_rcp_f32_e32 v2, v2
	v_mul_f32_e32 v2, 0x5f7ffffc, v2
	v_mul_f32_e32 v6, 0x2f800000, v2
	v_trunc_f32_e32 v6, v6
	v_fmac_f32_e32 v2, 0xcf800000, v6
	v_cvt_u32_f32_e32 v6, v6
	v_cvt_u32_f32_e32 v2, v2
	v_mul_lo_u32 v9, s0, v6
	v_mul_hi_u32 v10, s0, v2
	v_mul_lo_u32 v11, s20, v2
	v_add_nc_u32_e32 v9, v10, v9
	v_mul_lo_u32 v10, s0, v2
	v_add_nc_u32_e32 v9, v9, v11
	v_mul_hi_u32 v11, v2, v10
	v_mul_lo_u32 v12, v2, v9
	v_mul_hi_u32 v13, v2, v9
	v_mul_hi_u32 v14, v6, v10
	v_mul_lo_u32 v10, v6, v10
	v_mul_hi_u32 v15, v6, v9
	v_mul_lo_u32 v9, v6, v9
	v_add_co_u32 v11, vcc_lo, v11, v12
	v_add_co_ci_u32_e32 v12, vcc_lo, 0, v13, vcc_lo
	v_add_co_u32 v10, vcc_lo, v11, v10
	v_add_co_ci_u32_e32 v10, vcc_lo, v12, v14, vcc_lo
	v_add_co_ci_u32_e32 v11, vcc_lo, 0, v15, vcc_lo
	v_add_co_u32 v9, vcc_lo, v10, v9
	v_add_co_ci_u32_e32 v10, vcc_lo, 0, v11, vcc_lo
	v_add_co_u32 v2, vcc_lo, v2, v9
	v_add_co_ci_u32_e32 v6, vcc_lo, v6, v10, vcc_lo
	v_mul_hi_u32 v9, s0, v2
	v_mul_lo_u32 v11, s20, v2
	v_mul_lo_u32 v10, s0, v6
	v_add_nc_u32_e32 v9, v9, v10
	v_mul_lo_u32 v10, s0, v2
	v_add_nc_u32_e32 v9, v9, v11
	v_mul_hi_u32 v11, v2, v10
	v_mul_lo_u32 v12, v2, v9
	v_mul_hi_u32 v13, v2, v9
	v_mul_hi_u32 v14, v6, v10
	v_mul_lo_u32 v10, v6, v10
	v_mul_hi_u32 v15, v6, v9
	v_mul_lo_u32 v9, v6, v9
	v_add_co_u32 v11, vcc_lo, v11, v12
	v_add_co_ci_u32_e32 v12, vcc_lo, 0, v13, vcc_lo
	v_add_co_u32 v10, vcc_lo, v11, v10
	v_add_co_ci_u32_e32 v10, vcc_lo, v12, v14, vcc_lo
	v_add_co_ci_u32_e32 v11, vcc_lo, 0, v15, vcc_lo
	v_add_co_u32 v9, vcc_lo, v10, v9
	v_add_co_ci_u32_e32 v10, vcc_lo, 0, v11, vcc_lo
	v_add_co_u32 v2, vcc_lo, v2, v9
	v_add_co_ci_u32_e32 v6, vcc_lo, v6, v10, vcc_lo
	v_mul_hi_u32 v15, v7, v2
	v_mad_u64_u32 v[11:12], null, v8, v2, 0
	v_mad_u64_u32 v[9:10], null, v7, v6, 0
	v_mad_u64_u32 v[13:14], null, v8, v6, 0
	v_add_co_u32 v2, vcc_lo, v15, v9
	v_add_co_ci_u32_e32 v6, vcc_lo, 0, v10, vcc_lo
	v_add_co_u32 v2, vcc_lo, v2, v11
	v_add_co_ci_u32_e32 v2, vcc_lo, v6, v12, vcc_lo
	v_add_co_ci_u32_e32 v6, vcc_lo, 0, v14, vcc_lo
	v_add_co_u32 v2, vcc_lo, v2, v13
	v_add_co_ci_u32_e32 v6, vcc_lo, 0, v6, vcc_lo
	v_mul_lo_u32 v11, s19, v2
	v_mad_u64_u32 v[9:10], null, s18, v2, 0
	v_mul_lo_u32 v12, s18, v6
	v_sub_co_u32 v9, vcc_lo, v7, v9
	v_add3_u32 v10, v10, v12, v11
	v_sub_nc_u32_e32 v11, v8, v10
	v_subrev_co_ci_u32_e64 v11, s0, s19, v11, vcc_lo
	v_add_co_u32 v12, s0, v2, 2
	v_add_co_ci_u32_e64 v13, s0, 0, v6, s0
	v_sub_co_u32 v14, s0, v9, s18
	v_sub_co_ci_u32_e32 v10, vcc_lo, v8, v10, vcc_lo
	v_subrev_co_ci_u32_e64 v11, s0, 0, v11, s0
	v_cmp_le_u32_e32 vcc_lo, s18, v14
	v_cmp_eq_u32_e64 s0, s19, v10
	v_cndmask_b32_e64 v14, 0, -1, vcc_lo
	v_cmp_le_u32_e32 vcc_lo, s19, v11
	v_cndmask_b32_e64 v15, 0, -1, vcc_lo
	v_cmp_le_u32_e32 vcc_lo, s18, v9
	;; [unrolled: 2-line block ×3, first 2 shown]
	v_cndmask_b32_e64 v16, 0, -1, vcc_lo
	v_cmp_eq_u32_e32 vcc_lo, s19, v11
	v_cndmask_b32_e64 v9, v16, v9, s0
	v_cndmask_b32_e32 v11, v15, v14, vcc_lo
	v_add_co_u32 v14, vcc_lo, v2, 1
	v_add_co_ci_u32_e32 v15, vcc_lo, 0, v6, vcc_lo
	v_cmp_ne_u32_e32 vcc_lo, 0, v11
	v_cndmask_b32_e32 v10, v15, v13, vcc_lo
	v_cndmask_b32_e32 v11, v14, v12, vcc_lo
	v_cmp_ne_u32_e32 vcc_lo, 0, v9
	v_cndmask_b32_e32 v10, v6, v10, vcc_lo
	v_cndmask_b32_e32 v9, v2, v11, vcc_lo
.LBB0_4:                                ;   in Loop: Header=BB0_2 Depth=1
	s_andn2_saveexec_b32 s0, s1
	s_cbranch_execz .LBB0_6
; %bb.5:                                ;   in Loop: Header=BB0_2 Depth=1
	v_cvt_f32_u32_e32 v2, s18
	s_sub_i32 s1, 0, s18
	v_rcp_iflag_f32_e32 v2, v2
	v_mul_f32_e32 v2, 0x4f7ffffe, v2
	v_cvt_u32_f32_e32 v2, v2
	v_mul_lo_u32 v6, s1, v2
	v_mul_hi_u32 v6, v2, v6
	v_add_nc_u32_e32 v2, v2, v6
	v_mul_hi_u32 v2, v7, v2
	v_mul_lo_u32 v6, v2, s18
	v_add_nc_u32_e32 v9, 1, v2
	v_sub_nc_u32_e32 v6, v7, v6
	v_subrev_nc_u32_e32 v10, s18, v6
	v_cmp_le_u32_e32 vcc_lo, s18, v6
	v_cndmask_b32_e32 v6, v6, v10, vcc_lo
	v_cndmask_b32_e32 v2, v2, v9, vcc_lo
	v_mov_b32_e32 v10, v5
	v_cmp_le_u32_e32 vcc_lo, s18, v6
	v_add_nc_u32_e32 v9, 1, v2
	v_cndmask_b32_e32 v9, v2, v9, vcc_lo
.LBB0_6:                                ;   in Loop: Header=BB0_2 Depth=1
	s_or_b32 exec_lo, exec_lo, s0
	s_load_dwordx2 s[0:1], s[6:7], 0x0
	v_mul_lo_u32 v2, v10, s18
	v_mul_lo_u32 v6, v9, s19
	v_mad_u64_u32 v[11:12], null, v9, s18, 0
	s_add_u32 s16, s16, 1
	s_addc_u32 s17, s17, 0
	s_add_u32 s6, s6, 8
	s_addc_u32 s7, s7, 0
	;; [unrolled: 2-line block ×3, first 2 shown]
	v_add3_u32 v2, v12, v6, v2
	v_sub_co_u32 v6, vcc_lo, v7, v11
	v_sub_co_ci_u32_e32 v2, vcc_lo, v8, v2, vcc_lo
	s_waitcnt lgkmcnt(0)
	v_mul_lo_u32 v7, s1, v6
	v_mul_lo_u32 v2, s0, v2
	v_mad_u64_u32 v[3:4], null, s0, v6, v[3:4]
	v_cmp_ge_u64_e64 s0, s[16:17], s[10:11]
	s_and_b32 vcc_lo, exec_lo, s0
	v_add3_u32 v4, v7, v4, v2
	s_cbranch_vccnz .LBB0_8
; %bb.7:                                ;   in Loop: Header=BB0_2 Depth=1
	v_mov_b32_e32 v7, v9
	v_mov_b32_e32 v8, v10
	s_branch .LBB0_2
.LBB0_8:
	s_lshl_b64 s[0:1], s[10:11], 3
	v_mul_hi_u32 v2, 0xaaaaaaab, v1
	s_add_u32 s0, s12, s0
	s_addc_u32 s1, s13, s1
	s_load_dwordx2 s[4:5], s[4:5], 0x20
	s_load_dwordx2 s[0:1], s[0:1], 0x0
	v_mul_hi_u32 v5, 0x6666667, v0
	v_lshrrev_b32_e32 v2, 1, v2
	v_mul_u32_u24_e32 v5, 40, v5
	v_lshl_add_u32 v6, v2, 1, v2
	v_sub_nc_u32_e32 v12, v0, v5
	v_sub_nc_u32_e32 v0, v1, v6
	s_waitcnt lgkmcnt(0)
	v_cmp_gt_u64_e32 vcc_lo, s[4:5], v[9:10]
	v_mul_lo_u32 v7, s0, v10
	v_mul_lo_u32 v8, s1, v9
	v_mad_u64_u32 v[2:3], null, s0, v9, v[3:4]
	v_cmp_le_u64_e64 s0, s[4:5], v[9:10]
	v_add_nc_u32_e32 v14, 40, v12
	v_add_nc_u32_e32 v20, 0x50, v12
	v_add3_u32 v3, v8, v3, v7
	s_and_saveexec_b32 s1, s0
	s_xor_b32 s0, exec_lo, s1
; %bb.9:
	v_add_nc_u32_e32 v14, 40, v12
	v_add_nc_u32_e32 v20, 0x50, v12
; %bb.10:
	s_or_saveexec_b32 s1, s0
	v_mul_u32_u24_e32 v0, 0x191, v0
	v_lshlrev_b64 v[18:19], 3, v[2:3]
	v_lshlrev_b32_e32 v15, 3, v12
	v_or_b32_e32 v16, 0x140, v12
	v_lshlrev_b32_e32 v26, 3, v0
	s_xor_b32 exec_lo, exec_lo, s1
	s_cbranch_execz .LBB0_12
; %bb.11:
	v_mov_b32_e32 v13, 0
	v_add_co_u32 v23, s0, s2, v18
	v_add_co_ci_u32_e64 v24, s0, s3, v19, s0
	v_lshlrev_b64 v[0:1], 3, v[12:13]
	v_mov_b32_e32 v17, v13
	v_add3_u32 v13, 0, v26, v15
	v_lshlrev_b64 v[2:3], 3, v[16:17]
	v_add_co_u32 v0, s0, v23, v0
	v_add_co_ci_u32_e64 v1, s0, v24, v1, s0
	v_add_nc_u32_e32 v17, 0x400, v13
	v_add_co_u32 v21, s0, 0x800, v0
	v_add_co_ci_u32_e64 v22, s0, 0, v1, s0
	v_add_co_u32 v2, s0, v23, v2
	v_add_co_ci_u32_e64 v3, s0, v24, v3, s0
	s_clause 0x9
	global_load_dwordx2 v[4:5], v[0:1], off
	global_load_dwordx2 v[6:7], v[0:1], off offset:320
	global_load_dwordx2 v[8:9], v[0:1], off offset:640
	;; [unrolled: 1-line block ×7, first 2 shown]
	global_load_dwordx2 v[2:3], v[2:3], off
	global_load_dwordx2 v[21:22], v[21:22], off offset:832
	v_add_nc_u32_e32 v25, 0x800, v13
	s_waitcnt vmcnt(8)
	ds_write2_b64 v13, v[4:5], v[6:7] offset1:40
	s_waitcnt vmcnt(6)
	ds_write2_b64 v13, v[8:9], v[10:11] offset0:80 offset1:120
	s_waitcnt vmcnt(4)
	ds_write2_b64 v13, v[23:24], v[27:28] offset0:160 offset1:200
	;; [unrolled: 2-line block ×4, first 2 shown]
.LBB0_12:
	s_or_b32 exec_lo, exec_lo, s1
	v_add_nc_u32_e32 v17, 0, v26
	v_add3_u32 v13, 0, v15, v26
	s_waitcnt lgkmcnt(0)
	s_barrier
	buffer_gl0_inv
	v_add_nc_u32_e32 v23, v17, v15
	v_add_nc_u32_e32 v24, 0x800, v13
	ds_read2_b64 v[0:3], v13 offset0:180 offset1:200
	v_add_nc_u32_e32 v25, 0x400, v13
	s_mov_b32 s1, exec_lo
	ds_read_b64 v[35:36], v23
	ds_read2_b64 v[27:30], v13 offset0:100 offset1:140
	ds_read2_b64 v[31:34], v24 offset0:44 offset1:84
	;; [unrolled: 1-line block ×4, first 2 shown]
	ds_read_b64 v[21:22], v13 offset:3040
	s_waitcnt lgkmcnt(0)
	s_barrier
	buffer_gl0_inv
	v_sub_f32_e32 v2, v35, v2
	v_sub_f32_e32 v37, v36, v3
	;; [unrolled: 1-line block ×8, first 2 shown]
	v_fma_f32 v34, v35, 2.0, -v2
	v_fma_f32 v36, v36, 2.0, -v37
	;; [unrolled: 1-line block ×6, first 2 shown]
	v_sub_f32_e32 v8, v2, v31
	v_fma_f32 v40, v4, 2.0, -v38
	v_fma_f32 v31, v29, 2.0, -v32
	v_add_f32_e32 v9, v37, v3
	v_sub_f32_e32 v3, v38, v33
	v_add_f32_e32 v4, v39, v32
	v_sub_f32_e32 v27, v34, v27
	v_sub_f32_e32 v28, v36, v28
	;; [unrolled: 1-line block ×3, first 2 shown]
	v_fma_f32 v29, v2, 2.0, -v8
	v_sub_f32_e32 v31, v40, v31
	v_lshl_add_u32 v2, v14, 5, 0
	v_fma_f32 v30, v37, 2.0, -v9
	v_fma_f32 v33, v38, 2.0, -v3
	;; [unrolled: 1-line block ×5, first 2 shown]
	v_mad_u32_u24 v5, v12, 24, v13
	v_fma_f32 v37, v40, 2.0, -v31
	v_fma_f32 v34, v39, 2.0, -v4
	v_add_nc_u32_e32 v39, v2, v26
	ds_write2_b64 v5, v[35:36], v[29:30] offset1:1
	ds_write2_b64 v5, v[27:28], v[8:9] offset0:2 offset1:3
	ds_write2_b64 v39, v[37:38], v[33:34] offset1:1
	ds_write2_b64 v39, v[31:32], v[3:4] offset0:2 offset1:3
	v_cmpx_gt_u32_e32 20, v12
	s_cbranch_execz .LBB0_14
; %bb.13:
	v_sub_f32_e32 v5, v7, v11
	v_sub_f32_e32 v3, v1, v22
	v_sub_f32_e32 v8, v6, v10
	v_sub_f32_e32 v4, v0, v21
	v_fma_f32 v7, v7, 2.0, -v5
	v_fma_f32 v9, v1, 2.0, -v3
	;; [unrolled: 1-line block ×4, first 2 shown]
	v_add_f32_e32 v1, v5, v4
	v_sub_f32_e32 v0, v8, v3
	v_sub_f32_e32 v4, v7, v9
	v_lshlrev_b32_e32 v9, 5, v20
	v_sub_f32_e32 v3, v10, v6
	v_fma_f32 v6, v5, 2.0, -v1
	v_fma_f32 v5, v8, 2.0, -v0
	;; [unrolled: 1-line block ×3, first 2 shown]
	v_add3_u32 v9, 0, v9, v26
	v_fma_f32 v7, v10, 2.0, -v3
	ds_write2_b64 v9, v[7:8], v[5:6] offset1:1
	ds_write2_b64 v9, v[3:4], v[0:1] offset0:2 offset1:3
.LBB0_14:
	s_or_b32 exec_lo, exec_lo, s1
	v_and_b32_e32 v11, 3, v12
	s_waitcnt lgkmcnt(0)
	s_barrier
	buffer_gl0_inv
	v_mul_i32_i24_e32 v21, 0xffffffe8, v14
	v_mul_u32_u24_e32 v0, 9, v11
	v_lshrrev_b32_e32 v39, 2, v12
	s_add_u32 s1, s8, 0xc60
	s_addc_u32 s4, s9, 0
	v_add3_u32 v53, v2, v21, v26
	v_lshlrev_b32_e32 v0, 3, v0
	v_lshlrev_b32_e32 v2, 3, v20
	v_mul_u32_u24_e32 v39, 40, v39
	s_mov_b32 s5, exec_lo
	s_clause 0x4
	global_load_dwordx4 v[3:6], v0, s[8:9]
	global_load_dwordx4 v[7:10], v0, s[8:9] offset:16
	global_load_dwordx4 v[27:30], v0, s[8:9] offset:32
	;; [unrolled: 1-line block ×3, first 2 shown]
	global_load_dwordx2 v[0:1], v0, s[8:9] offset:64
	ds_read_b64 v[21:22], v53
	ds_read2_b64 v[35:38], v13 offset0:120 offset1:160
	v_add3_u32 v54, 0, v2, v26
	ds_read_b64 v[47:48], v23
	v_or_b32_e32 v11, v39, v11
	ds_read_b64 v[49:50], v54
	ds_read2_b64 v[39:42], v13 offset0:200 offset1:240
	ds_read2_b64 v[43:46], v24 offset0:24 offset1:64
	v_mul_u32_u24_e32 v2, 9, v12
	ds_read_b64 v[51:52], v13 offset:2880
	s_waitcnt vmcnt(0) lgkmcnt(0)
	s_barrier
	buffer_gl0_inv
	v_lshlrev_b32_e32 v55, 3, v2
	v_lshlrev_b32_e32 v2, 3, v11
	v_add3_u32 v56, 0, v2, v26
	v_mul_f32_e32 v2, v4, v22
	v_mul_f32_e32 v11, v8, v36
	;; [unrolled: 1-line block ×6, first 2 shown]
	v_fma_f32 v11, v7, v35, -v11
	v_fmac_f32_e32 v8, v7, v36
	v_fma_f32 v7, v9, v37, -v26
	v_fmac_f32_e32 v10, v9, v38
	v_mul_f32_e32 v9, v6, v50
	v_mul_f32_e32 v26, v28, v40
	;; [unrolled: 1-line block ×3, first 2 shown]
	v_fma_f32 v21, v3, v21, -v2
	v_mul_f32_e32 v2, v46, v34
	v_mul_f32_e32 v6, v6, v49
	;; [unrolled: 1-line block ×3, first 2 shown]
	v_fmac_f32_e32 v4, v3, v22
	v_mul_f32_e32 v3, v45, v34
	v_mul_f32_e32 v28, v28, v39
	;; [unrolled: 1-line block ×4, first 2 shown]
	v_fma_f32 v9, v5, v49, -v9
	v_fma_f32 v22, v27, v39, -v26
	;; [unrolled: 1-line block ×4, first 2 shown]
	v_fmac_f32_e32 v6, v5, v50
	v_mul_f32_e32 v5, v52, v1
	v_mul_f32_e32 v1, v51, v1
	v_fmac_f32_e32 v30, v42, v29
	v_fmac_f32_e32 v3, v46, v33
	;; [unrolled: 1-line block ×3, first 2 shown]
	v_fma_f32 v27, v43, v31, -v36
	v_fmac_f32_e32 v32, v44, v31
	v_sub_f32_e32 v34, v9, v7
	v_sub_f32_e32 v35, v2, v26
	;; [unrolled: 1-line block ×4, first 2 shown]
	v_fma_f32 v5, v51, v0, -v5
	v_fmac_f32_e32 v1, v52, v0
	v_sub_f32_e32 v31, v6, v3
	v_add_f32_e32 v39, v48, v6
	v_sub_f32_e32 v42, v6, v10
	v_add_f32_e32 v44, v6, v3
	v_sub_f32_e32 v6, v10, v6
	v_sub_f32_e32 v45, v30, v3
	v_add_f32_e32 v29, v7, v26
	v_add_f32_e32 v36, v9, v2
	v_sub_f32_e32 v43, v3, v30
	v_add_f32_e32 v46, v21, v11
	v_add_f32_e32 v49, v22, v27
	;; [unrolled: 1-line block ×10, first 2 shown]
	v_sub_f32_e32 v33, v10, v30
	v_add_f32_e32 v40, v10, v30
	v_sub_f32_e32 v50, v8, v1
	v_sub_f32_e32 v51, v28, v32
	;; [unrolled: 1-line block ×5, first 2 shown]
	v_add_f32_e32 v10, v39, v10
	v_sub_f32_e32 v39, v22, v27
	v_add_f32_e32 v42, v42, v43
	v_sub_f32_e32 v43, v8, v28
	v_sub_f32_e32 v8, v28, v8
	v_add_f32_e32 v22, v46, v22
	v_fma_f32 v29, -0.5, v29, v47
	v_fma_f32 v36, -0.5, v36, v47
	v_fma_f32 v47, -0.5, v49, v21
	v_add_f32_e32 v28, v35, v28
	v_fma_f32 v35, -0.5, v38, v4
	v_sub_f32_e32 v46, v32, v1
	v_fmac_f32_e32 v21, -0.5, v58
	v_fmac_f32_e32 v4, -0.5, v45
	v_sub_f32_e32 v41, v7, v26
	v_sub_f32_e32 v57, v5, v27
	v_add_f32_e32 v0, v0, v7
	v_sub_f32_e32 v7, v27, v5
	v_fma_f32 v40, -0.5, v40, v48
	v_fmac_f32_e32 v48, -0.5, v44
	v_sub_f32_e32 v44, v1, v32
	v_add_f32_e32 v22, v22, v27
	v_fmamk_f32 v27, v50, 0x3f737871, v47
	v_add_f32_e32 v28, v28, v32
	v_fmamk_f32 v32, v11, 0xbf737871, v35
	v_add_f32_e32 v8, v8, v46
	v_add_f32_e32 v10, v10, v30
	v_fmamk_f32 v30, v51, 0xbf737871, v21
	v_fmac_f32_e32 v21, 0x3f737871, v51
	v_fmamk_f32 v46, v39, 0x3f737871, v4
	v_fmac_f32_e32 v4, 0xbf737871, v39
	v_fmac_f32_e32 v47, 0xbf737871, v50
	;; [unrolled: 1-line block ×3, first 2 shown]
	v_sub_f32_e32 v9, v9, v2
	v_add_f32_e32 v49, v52, v57
	v_add_f32_e32 v38, v43, v44
	v_fmac_f32_e32 v27, 0x3f167918, v51
	v_fmac_f32_e32 v32, 0xbf167918, v39
	v_add_f32_e32 v7, v59, v7
	v_add_f32_e32 v0, v0, v26
	v_fmac_f32_e32 v30, 0x3f167918, v50
	v_fmac_f32_e32 v21, 0xbf167918, v50
	;; [unrolled: 1-line block ×4, first 2 shown]
	v_fmamk_f32 v45, v41, 0x3f737871, v48
	v_fmac_f32_e32 v48, 0xbf737871, v41
	v_fmac_f32_e32 v47, 0xbf167918, v51
	;; [unrolled: 1-line block ×3, first 2 shown]
	v_fmamk_f32 v26, v31, 0x3f737871, v29
	v_fmamk_f32 v43, v33, 0xbf737871, v36
	v_fmac_f32_e32 v36, 0x3f737871, v33
	v_fmamk_f32 v44, v9, 0xbf737871, v40
	v_fmac_f32_e32 v27, 0x3e9e377a, v49
	v_fmac_f32_e32 v32, 0x3e9e377a, v38
	;; [unrolled: 1-line block ×3, first 2 shown]
	v_add_f32_e32 v2, v0, v2
	v_add_f32_e32 v5, v22, v5
	v_fmac_f32_e32 v30, 0x3e9e377a, v7
	v_fmac_f32_e32 v21, 0x3e9e377a, v7
	;; [unrolled: 1-line block ×13, first 2 shown]
	v_mul_f32_e32 v22, 0x3f167918, v32
	v_mul_f32_e32 v31, 0xbf167918, v27
	v_fmac_f32_e32 v29, 0xbf167918, v33
	v_add_f32_e32 v9, v28, v1
	v_add_f32_e32 v0, v2, v5
	v_sub_f32_e32 v2, v2, v5
	v_mul_f32_e32 v28, 0x3f737871, v46
	v_mul_f32_e32 v5, 0x3e9e377a, v21
	;; [unrolled: 1-line block ×4, first 2 shown]
	v_fmac_f32_e32 v40, 0x3f167918, v41
	v_fmac_f32_e32 v45, 0x3e9e377a, v6
	;; [unrolled: 1-line block ×3, first 2 shown]
	v_mul_f32_e32 v6, 0x3f4f1bbd, v47
	v_mul_f32_e32 v8, 0x3f4f1bbd, v35
	v_add_f32_e32 v3, v10, v3
	v_fmac_f32_e32 v26, 0x3e9e377a, v34
	v_fmac_f32_e32 v44, 0x3e9e377a, v42
	;; [unrolled: 1-line block ×7, first 2 shown]
	v_fma_f32 v27, 0x3f737871, v4, -v5
	v_fmac_f32_e32 v33, 0x3e9e377a, v46
	v_fma_f32 v32, 0xbf737871, v21, -v7
	v_fmac_f32_e32 v29, 0x3e9e377a, v34
	v_fmac_f32_e32 v40, 0x3e9e377a, v42
	v_fma_f32 v30, 0x3f167918, v35, -v6
	v_fma_f32 v34, 0xbf167918, v47, -v8
	v_add_f32_e32 v1, v3, v9
	v_add_f32_e32 v4, v26, v22
	;; [unrolled: 1-line block ×3, first 2 shown]
	v_sub_f32_e32 v3, v3, v9
	v_add_f32_e32 v6, v43, v28
	v_add_f32_e32 v8, v36, v27
	;; [unrolled: 1-line block ×6, first 2 shown]
	v_sub_f32_e32 v21, v26, v22
	v_sub_f32_e32 v26, v43, v28
	;; [unrolled: 1-line block ×8, first 2 shown]
	ds_write2_b64 v56, v[0:1], v[4:5] offset1:4
	ds_write2_b64 v56, v[6:7], v[8:9] offset0:8 offset1:12
	ds_write2_b64 v56, v[10:11], v[2:3] offset0:16 offset1:20
	;; [unrolled: 1-line block ×4, first 2 shown]
	s_waitcnt lgkmcnt(0)
	s_barrier
	buffer_gl0_inv
	s_clause 0x4
	global_load_dwordx4 v[0:3], v55, s[8:9] offset:288
	global_load_dwordx4 v[4:7], v55, s[8:9] offset:304
	;; [unrolled: 1-line block ×4, first 2 shown]
	global_load_dwordx2 v[21:22], v55, s[8:9] offset:352
	ds_read_b64 v[42:43], v53
	ds_read_b64 v[44:45], v54
	ds_read2_b64 v[30:33], v13 offset0:120 offset1:160
	ds_read2_b64 v[34:37], v13 offset0:200 offset1:240
	ds_read_b64 v[46:47], v23
	ds_read2_b64 v[38:41], v24 offset0:24 offset1:64
	ds_read_b64 v[48:49], v13 offset:2880
	s_waitcnt vmcnt(0) lgkmcnt(0)
	s_barrier
	buffer_gl0_inv
	v_mul_f32_e32 v50, v1, v43
	v_mul_f32_e32 v51, v1, v42
	;; [unrolled: 1-line block ×10, first 2 shown]
	v_fma_f32 v42, v0, v42, -v50
	v_fmac_f32_e32 v51, v0, v43
	v_mul_f32_e32 v0, v37, v11
	v_mul_f32_e32 v43, v41, v29
	;; [unrolled: 1-line block ×3, first 2 shown]
	v_fma_f32 v1, v2, v44, -v1
	v_fmac_f32_e32 v3, v2, v45
	v_mul_f32_e32 v2, v39, v27
	v_mul_f32_e32 v27, v38, v27
	;; [unrolled: 1-line block ×5, first 2 shown]
	v_fma_f32 v30, v4, v30, -v52
	v_fmac_f32_e32 v5, v4, v31
	v_fma_f32 v4, v6, v32, -v53
	v_fmac_f32_e32 v7, v6, v33
	;; [unrolled: 2-line block ×3, first 2 shown]
	v_fma_f32 v0, v36, v10, -v0
	v_fma_f32 v8, v40, v28, -v43
	v_fmac_f32_e32 v11, v37, v10
	v_fma_f32 v2, v38, v26, -v2
	v_fmac_f32_e32 v27, v39, v26
	v_fmac_f32_e32 v29, v41, v28
	v_fma_f32 v10, v48, v21, -v44
	v_fmac_f32_e32 v22, v49, v21
	v_sub_f32_e32 v35, v4, v1
	v_sub_f32_e32 v36, v0, v8
	v_add_f32_e32 v21, v46, v1
	v_add_f32_e32 v26, v4, v0
	v_sub_f32_e32 v28, v3, v29
	v_add_f32_e32 v37, v47, v3
	v_sub_f32_e32 v40, v3, v7
	v_sub_f32_e32 v41, v29, v11
	v_add_f32_e32 v43, v3, v29
	v_sub_f32_e32 v3, v7, v3
	v_sub_f32_e32 v44, v11, v29
	v_add_f32_e32 v45, v42, v30
	v_add_f32_e32 v48, v6, v2
	;; [unrolled: 1-line block ×7, first 2 shown]
	v_sub_f32_e32 v31, v7, v11
	v_sub_f32_e32 v32, v1, v4
	;; [unrolled: 1-line block ×3, first 2 shown]
	v_add_f32_e32 v38, v7, v11
	v_sub_f32_e32 v39, v4, v0
	v_sub_f32_e32 v49, v5, v22
	;; [unrolled: 1-line block ×6, first 2 shown]
	v_add_f32_e32 v4, v21, v4
	v_add_f32_e32 v7, v37, v7
	v_fma_f32 v60, -0.5, v26, v46
	v_add_f32_e32 v26, v40, v41
	v_add_f32_e32 v3, v3, v44
	;; [unrolled: 1-line block ×3, first 2 shown]
	v_fma_f32 v40, -0.5, v48, v42
	v_fma_f32 v44, -0.5, v58, v51
	v_sub_f32_e32 v50, v9, v27
	v_sub_f32_e32 v21, v5, v9
	;; [unrolled: 1-line block ×3, first 2 shown]
	v_fmac_f32_e32 v42, -0.5, v54
	v_add_f32_e32 v9, v57, v9
	v_fmac_f32_e32 v51, -0.5, v36
	v_sub_f32_e32 v53, v10, v2
	v_sub_f32_e32 v56, v2, v10
	v_add_f32_e32 v32, v32, v33
	v_sub_f32_e32 v33, v22, v27
	v_add_f32_e32 v0, v4, v0
	v_add_f32_e32 v4, v7, v11
	;; [unrolled: 1-line block ×3, first 2 shown]
	v_fmamk_f32 v6, v49, 0x3f737871, v40
	v_fmamk_f32 v11, v30, 0xbf737871, v44
	v_add_f32_e32 v34, v1, v8
	v_sub_f32_e32 v37, v27, v22
	v_fma_f32 v38, -0.5, v38, v47
	v_fmac_f32_e32 v47, -0.5, v43
	v_fmamk_f32 v7, v50, 0xbf737871, v42
	v_fmac_f32_e32 v42, 0x3f737871, v50
	v_add_f32_e32 v9, v9, v27
	v_fmamk_f32 v27, v59, 0x3f737871, v51
	v_fmac_f32_e32 v51, 0xbf737871, v59
	v_fmac_f32_e32 v40, 0xbf737871, v49
	v_fmac_f32_e32 v44, 0x3f737871, v30
	v_sub_f32_e32 v1, v1, v8
	v_add_f32_e32 v41, v52, v53
	v_add_f32_e32 v21, v21, v33
	v_fmac_f32_e32 v6, 0x3f167918, v50
	v_fmac_f32_e32 v11, 0xbf167918, v59
	v_fma_f32 v34, -0.5, v34, v46
	v_add_f32_e32 v43, v55, v56
	v_add_f32_e32 v5, v5, v37
	v_fmamk_f32 v45, v39, 0x3f737871, v47
	v_fmac_f32_e32 v47, 0xbf737871, v39
	v_fmac_f32_e32 v7, 0x3f167918, v49
	;; [unrolled: 1-line block ×7, first 2 shown]
	v_fmamk_f32 v33, v28, 0x3f737871, v60
	v_fmamk_f32 v37, v1, 0xbf737871, v38
	v_fmac_f32_e32 v6, 0x3e9e377a, v41
	v_fmac_f32_e32 v11, 0x3e9e377a, v21
	;; [unrolled: 1-line block ×3, first 2 shown]
	v_fmamk_f32 v36, v31, 0xbf737871, v34
	v_fmac_f32_e32 v34, 0x3f737871, v31
	v_add_f32_e32 v8, v0, v8
	v_add_f32_e32 v4, v4, v29
	v_fmac_f32_e32 v45, 0xbf167918, v1
	v_fmac_f32_e32 v47, 0x3f167918, v1
	v_add_f32_e32 v2, v2, v10
	v_add_f32_e32 v9, v9, v22
	v_fmac_f32_e32 v7, 0x3e9e377a, v43
	v_fmac_f32_e32 v42, 0x3e9e377a, v43
	;; [unrolled: 1-line block ×9, first 2 shown]
	v_mul_f32_e32 v21, 0x3f167918, v11
	v_mul_f32_e32 v29, 0xbf167918, v6
	v_fmac_f32_e32 v60, 0xbf167918, v31
	v_fmac_f32_e32 v36, 0x3f167918, v28
	;; [unrolled: 1-line block ×5, first 2 shown]
	v_add_f32_e32 v0, v8, v2
	v_add_f32_e32 v1, v4, v9
	v_sub_f32_e32 v2, v8, v2
	v_sub_f32_e32 v3, v4, v9
	v_mul_f32_e32 v22, 0x3f737871, v27
	v_mul_f32_e32 v4, 0x3e9e377a, v42
	;; [unrolled: 1-line block ×4, first 2 shown]
	v_fmac_f32_e32 v38, 0x3f167918, v39
	v_mul_f32_e32 v5, 0x3f4f1bbd, v40
	v_mul_f32_e32 v9, 0x3f4f1bbd, v44
	v_fmac_f32_e32 v33, 0x3e9e377a, v32
	v_fmac_f32_e32 v37, 0x3e9e377a, v26
	;; [unrolled: 1-line block ×8, first 2 shown]
	v_fma_f32 v28, 0x3f737871, v51, -v4
	v_fmac_f32_e32 v31, 0x3e9e377a, v27
	v_fma_f32 v32, 0xbf737871, v42, -v8
	v_fmac_f32_e32 v38, 0x3e9e377a, v26
	v_fma_f32 v30, 0x3f167918, v44, -v5
	v_fma_f32 v35, 0xbf167918, v40, -v9
	v_add_f32_e32 v4, v33, v21
	v_add_f32_e32 v5, v37, v29
	;; [unrolled: 1-line block ×8, first 2 shown]
	v_sub_f32_e32 v21, v33, v21
	v_sub_f32_e32 v26, v36, v22
	;; [unrolled: 1-line block ×8, first 2 shown]
	ds_write2_b64 v13, v[0:1], v[4:5] offset1:40
	ds_write2_b64 v13, v[6:7], v[8:9] offset0:80 offset1:120
	ds_write2_b64 v13, v[10:11], v[2:3] offset0:160 offset1:200
	;; [unrolled: 1-line block ×4, first 2 shown]
	s_waitcnt lgkmcnt(0)
	s_barrier
	buffer_gl0_inv
	ds_read_b64 v[4:5], v23
	v_sub_nc_u32_e32 v6, v17, v15
                                        ; implicit-def: $vgpr0
                                        ; implicit-def: $vgpr7
                                        ; implicit-def: $vgpr8
                                        ; implicit-def: $vgpr2_vgpr3
	v_cmpx_ne_u32_e32 0, v12
	s_xor_b32 s5, exec_lo, s5
	s_cbranch_execz .LBB0_16
; %bb.15:
	v_mov_b32_e32 v13, 0
	ds_read_b64 v[2:3], v6 offset:3200
	v_lshlrev_b64 v[0:1], 3, v[12:13]
	v_add_co_u32 v0, s0, s1, v0
	v_add_co_ci_u32_e64 v1, s0, s4, v1, s0
	global_load_dwordx2 v[0:1], v[0:1], off
	s_waitcnt lgkmcnt(0)
	v_sub_f32_e32 v7, v4, v2
	v_add_f32_e32 v8, v3, v5
	v_sub_f32_e32 v3, v5, v3
	v_add_f32_e32 v2, v2, v4
	v_mul_f32_e32 v5, 0.5, v7
	v_mul_f32_e32 v9, 0.5, v8
	;; [unrolled: 1-line block ×3, first 2 shown]
	s_waitcnt vmcnt(0)
	v_mul_f32_e32 v4, v1, v5
	v_fma_f32 v8, v9, v1, v3
	v_fma_f32 v1, v9, v1, -v3
	v_fma_f32 v7, 0.5, v2, v4
	v_fma_f32 v2, v2, 0.5, -v4
	v_fma_f32 v8, -v0, v5, v8
	v_fma_f32 v1, -v0, v5, v1
                                        ; implicit-def: $vgpr4_vgpr5
	v_fmac_f32_e32 v7, v0, v9
	v_fma_f32 v0, -v0, v9, v2
	v_mov_b32_e32 v2, v12
	v_mov_b32_e32 v3, v13
.LBB0_16:
	s_andn2_saveexec_b32 s0, s5
	s_cbranch_execz .LBB0_18
; %bb.17:
	ds_read_b32 v1, v17 offset:1604
	v_mov_b32_e32 v2, 0
	s_waitcnt lgkmcnt(1)
	v_add_f32_e32 v7, v4, v5
	v_sub_f32_e32 v0, v4, v5
	v_mov_b32_e32 v3, 0
	v_mov_b32_e32 v8, 0
	s_waitcnt lgkmcnt(0)
	v_xor_b32_e32 v4, 0x80000000, v1
	v_mov_b32_e32 v1, 0
	ds_write_b32 v17, v4 offset:1604
.LBB0_18:
	s_or_b32 exec_lo, exec_lo, s0
	v_mov_b32_e32 v15, 0
	v_lshlrev_b64 v[2:3], 3, v[2:3]
	v_lshl_add_u32 v11, v14, 3, v17
	s_waitcnt lgkmcnt(0)
	v_lshlrev_b64 v[4:5], 3, v[14:15]
	v_mov_b32_e32 v21, v15
	v_lshlrev_b64 v[9:10], 3, v[20:21]
	v_add_co_u32 v4, s0, s1, v4
	v_add_co_ci_u32_e64 v5, s0, s4, v5, s0
	v_add_co_u32 v9, s0, s1, v9
	global_load_dwordx2 v[4:5], v[4:5], off
	v_add_co_ci_u32_e64 v10, s0, s4, v10, s0
	v_add_co_u32 v21, s0, s1, v2
	v_add_co_ci_u32_e64 v22, s0, s4, v3, s0
	s_clause 0x2
	global_load_dwordx2 v[9:10], v[9:10], off
	global_load_dwordx2 v[24:25], v[21:22], off offset:960
	global_load_dwordx2 v[21:22], v[21:22], off offset:1280
	ds_write2_b32 v23, v7, v8 offset1:1
	ds_write_b64 v6, v[0:1] offset:3200
	ds_read_b64 v[0:1], v11
	ds_read_b64 v[7:8], v6 offset:2880
	s_waitcnt lgkmcnt(0)
	v_sub_f32_e32 v13, v0, v7
	v_add_f32_e32 v14, v1, v8
	v_sub_f32_e32 v1, v1, v8
	v_add_f32_e32 v0, v0, v7
	v_mul_f32_e32 v8, 0.5, v13
	v_mul_f32_e32 v13, 0.5, v14
	;; [unrolled: 1-line block ×3, first 2 shown]
	s_waitcnt vmcnt(3)
	v_mul_f32_e32 v7, v5, v8
	v_fma_f32 v14, v13, v5, v1
	v_fma_f32 v1, v13, v5, -v1
	v_fma_f32 v5, 0.5, v0, v7
	v_fma_f32 v0, v0, 0.5, -v7
	v_fma_f32 v7, -v4, v8, v14
	v_fma_f32 v1, -v4, v8, v1
	v_lshl_add_u32 v8, v20, 3, v17
	v_fmac_f32_e32 v5, v4, v13
	v_fma_f32 v0, -v4, v13, v0
	ds_write2_b32 v11, v5, v7 offset1:1
	ds_write_b64 v6, v[0:1] offset:2880
	ds_read_b64 v[0:1], v8
	ds_read_b64 v[4:5], v6 offset:2560
	s_waitcnt lgkmcnt(0)
	v_sub_f32_e32 v7, v0, v4
	v_add_f32_e32 v11, v1, v5
	v_sub_f32_e32 v1, v1, v5
	v_add_f32_e32 v0, v0, v4
	v_mul_f32_e32 v5, 0.5, v7
	v_mul_f32_e32 v7, 0.5, v11
	;; [unrolled: 1-line block ×3, first 2 shown]
	s_waitcnt vmcnt(2)
	v_mul_f32_e32 v4, v10, v5
	v_fma_f32 v11, v7, v10, v1
	v_fma_f32 v1, v7, v10, -v1
	v_fma_f32 v10, 0.5, v0, v4
	v_fma_f32 v0, v0, 0.5, -v4
	v_fma_f32 v4, -v9, v5, v11
	v_fma_f32 v1, -v9, v5, v1
	v_fmac_f32_e32 v10, v9, v7
	v_fma_f32 v0, -v9, v7, v0
	ds_write2_b32 v8, v10, v4 offset1:1
	ds_write_b64 v6, v[0:1] offset:2560
	ds_read_b64 v[0:1], v23 offset:960
	ds_read_b64 v[4:5], v6 offset:2240
	s_waitcnt lgkmcnt(0)
	v_sub_f32_e32 v7, v0, v4
	v_add_f32_e32 v8, v1, v5
	v_sub_f32_e32 v1, v1, v5
	v_add_f32_e32 v0, v0, v4
	v_mul_f32_e32 v5, 0.5, v7
	v_mul_f32_e32 v7, 0.5, v8
	;; [unrolled: 1-line block ×3, first 2 shown]
	s_waitcnt vmcnt(1)
	v_mul_f32_e32 v4, v25, v5
	v_fma_f32 v8, v7, v25, v1
	v_fma_f32 v1, v7, v25, -v1
	v_fma_f32 v9, 0.5, v0, v4
	v_fma_f32 v0, v0, 0.5, -v4
	v_fma_f32 v4, -v24, v5, v8
	v_fma_f32 v1, -v24, v5, v1
	v_fmac_f32_e32 v9, v24, v7
	v_fma_f32 v0, -v24, v7, v0
	ds_write2_b32 v23, v9, v4 offset0:240 offset1:241
	ds_write_b64 v6, v[0:1] offset:2240
	ds_read_b64 v[0:1], v23 offset:1280
	ds_read_b64 v[4:5], v6 offset:1920
	s_waitcnt lgkmcnt(0)
	v_sub_f32_e32 v7, v0, v4
	v_add_f32_e32 v8, v1, v5
	v_sub_f32_e32 v1, v1, v5
	v_add_f32_e32 v0, v0, v4
	v_mul_f32_e32 v5, 0.5, v7
	v_mul_f32_e32 v7, 0.5, v8
	;; [unrolled: 1-line block ×3, first 2 shown]
	s_waitcnt vmcnt(0)
	v_mul_f32_e32 v4, v22, v5
	v_fma_f32 v8, v7, v22, v1
	v_fma_f32 v1, v7, v22, -v1
	v_fma_f32 v9, 0.5, v0, v4
	v_fma_f32 v0, v0, 0.5, -v4
	v_add_nc_u32_e32 v4, 0x400, v23
	v_fma_f32 v8, -v21, v5, v8
	v_fma_f32 v1, -v21, v5, v1
	v_fmac_f32_e32 v9, v21, v7
	v_fma_f32 v0, -v21, v7, v0
	ds_write2_b32 v4, v9, v8 offset0:64 offset1:65
	ds_write_b64 v6, v[0:1] offset:1920
	s_waitcnt lgkmcnt(0)
	s_barrier
	buffer_gl0_inv
	s_and_saveexec_b32 s0, vcc_lo
	s_cbranch_execz .LBB0_21
; %bb.19:
	ds_read2_b64 v[5:8], v23 offset1:40
	ds_read2_b64 v[24:27], v23 offset0:80 offset1:120
	ds_read2_b64 v[28:31], v23 offset0:160 offset1:200
	v_add_co_u32 v0, vcc_lo, s2, v18
	v_add_co_ci_u32_e32 v1, vcc_lo, s3, v19, vcc_lo
	ds_read2_b64 v[18:21], v4 offset0:112 offset1:152
	v_add_nc_u32_e32 v4, 0x800, v23
	v_mov_b32_e32 v17, v15
	v_add_co_u32 v2, vcc_lo, v0, v2
	v_add_co_ci_u32_e32 v3, vcc_lo, v1, v3, vcc_lo
	ds_read2_b64 v[32:35], v4 offset0:64 offset1:104
	v_lshlrev_b64 v[9:10], 3, v[16:17]
	v_add_co_u32 v4, vcc_lo, 0x800, v2
	s_waitcnt lgkmcnt(4)
	global_store_dwordx2 v[2:3], v[5:6], off
	global_store_dwordx2 v[2:3], v[7:8], off offset:320
	s_waitcnt lgkmcnt(3)
	global_store_dwordx2 v[2:3], v[24:25], off offset:640
	global_store_dwordx2 v[2:3], v[26:27], off offset:960
	s_waitcnt lgkmcnt(2)
	global_store_dwordx2 v[2:3], v[28:29], off offset:1280
	v_add_co_ci_u32_e32 v5, vcc_lo, 0, v3, vcc_lo
	v_add_co_u32 v6, vcc_lo, v0, v9
	v_add_co_ci_u32_e32 v7, vcc_lo, v1, v10, vcc_lo
	v_cmp_eq_u32_e32 vcc_lo, 39, v12
	global_store_dwordx2 v[2:3], v[30:31], off offset:1600
	s_waitcnt lgkmcnt(1)
	global_store_dwordx2 v[2:3], v[18:19], off offset:1920
	global_store_dwordx2 v[4:5], v[20:21], off offset:192
	s_waitcnt lgkmcnt(0)
	global_store_dwordx2 v[6:7], v[32:33], off
	global_store_dwordx2 v[4:5], v[34:35], off offset:832
	s_and_b32 exec_lo, exec_lo, vcc_lo
	s_cbranch_execz .LBB0_21
; %bb.20:
	ds_read_b64 v[2:3], v23 offset:2888
	v_add_co_u32 v0, vcc_lo, 0x800, v0
	v_add_co_ci_u32_e32 v1, vcc_lo, 0, v1, vcc_lo
	s_waitcnt lgkmcnt(0)
	global_store_dwordx2 v[0:1], v[2:3], off offset:1152
.LBB0_21:
	s_endpgm
	.section	.rodata,"a",@progbits
	.p2align	6, 0x0
	.amdhsa_kernel fft_rtc_fwd_len400_factors_4_10_10_wgs_120_tpt_40_halfLds_sp_ip_CI_unitstride_sbrr_R2C_dirReg
		.amdhsa_group_segment_fixed_size 0
		.amdhsa_private_segment_fixed_size 0
		.amdhsa_kernarg_size 88
		.amdhsa_user_sgpr_count 6
		.amdhsa_user_sgpr_private_segment_buffer 1
		.amdhsa_user_sgpr_dispatch_ptr 0
		.amdhsa_user_sgpr_queue_ptr 0
		.amdhsa_user_sgpr_kernarg_segment_ptr 1
		.amdhsa_user_sgpr_dispatch_id 0
		.amdhsa_user_sgpr_flat_scratch_init 0
		.amdhsa_user_sgpr_private_segment_size 0
		.amdhsa_wavefront_size32 1
		.amdhsa_uses_dynamic_stack 0
		.amdhsa_system_sgpr_private_segment_wavefront_offset 0
		.amdhsa_system_sgpr_workgroup_id_x 1
		.amdhsa_system_sgpr_workgroup_id_y 0
		.amdhsa_system_sgpr_workgroup_id_z 0
		.amdhsa_system_sgpr_workgroup_info 0
		.amdhsa_system_vgpr_workitem_id 0
		.amdhsa_next_free_vgpr 61
		.amdhsa_next_free_sgpr 21
		.amdhsa_reserve_vcc 1
		.amdhsa_reserve_flat_scratch 0
		.amdhsa_float_round_mode_32 0
		.amdhsa_float_round_mode_16_64 0
		.amdhsa_float_denorm_mode_32 3
		.amdhsa_float_denorm_mode_16_64 3
		.amdhsa_dx10_clamp 1
		.amdhsa_ieee_mode 1
		.amdhsa_fp16_overflow 0
		.amdhsa_workgroup_processor_mode 1
		.amdhsa_memory_ordered 1
		.amdhsa_forward_progress 0
		.amdhsa_shared_vgpr_count 0
		.amdhsa_exception_fp_ieee_invalid_op 0
		.amdhsa_exception_fp_denorm_src 0
		.amdhsa_exception_fp_ieee_div_zero 0
		.amdhsa_exception_fp_ieee_overflow 0
		.amdhsa_exception_fp_ieee_underflow 0
		.amdhsa_exception_fp_ieee_inexact 0
		.amdhsa_exception_int_div_zero 0
	.end_amdhsa_kernel
	.text
.Lfunc_end0:
	.size	fft_rtc_fwd_len400_factors_4_10_10_wgs_120_tpt_40_halfLds_sp_ip_CI_unitstride_sbrr_R2C_dirReg, .Lfunc_end0-fft_rtc_fwd_len400_factors_4_10_10_wgs_120_tpt_40_halfLds_sp_ip_CI_unitstride_sbrr_R2C_dirReg
                                        ; -- End function
	.section	.AMDGPU.csdata,"",@progbits
; Kernel info:
; codeLenInByte = 5816
; NumSgprs: 23
; NumVgprs: 61
; ScratchSize: 0
; MemoryBound: 0
; FloatMode: 240
; IeeeMode: 1
; LDSByteSize: 0 bytes/workgroup (compile time only)
; SGPRBlocks: 2
; VGPRBlocks: 7
; NumSGPRsForWavesPerEU: 23
; NumVGPRsForWavesPerEU: 61
; Occupancy: 16
; WaveLimiterHint : 1
; COMPUTE_PGM_RSRC2:SCRATCH_EN: 0
; COMPUTE_PGM_RSRC2:USER_SGPR: 6
; COMPUTE_PGM_RSRC2:TRAP_HANDLER: 0
; COMPUTE_PGM_RSRC2:TGID_X_EN: 1
; COMPUTE_PGM_RSRC2:TGID_Y_EN: 0
; COMPUTE_PGM_RSRC2:TGID_Z_EN: 0
; COMPUTE_PGM_RSRC2:TIDIG_COMP_CNT: 0
	.text
	.p2alignl 6, 3214868480
	.fill 48, 4, 3214868480
	.type	__hip_cuid_57127cbfe380600b,@object ; @__hip_cuid_57127cbfe380600b
	.section	.bss,"aw",@nobits
	.globl	__hip_cuid_57127cbfe380600b
__hip_cuid_57127cbfe380600b:
	.byte	0                               ; 0x0
	.size	__hip_cuid_57127cbfe380600b, 1

	.ident	"AMD clang version 19.0.0git (https://github.com/RadeonOpenCompute/llvm-project roc-6.4.0 25133 c7fe45cf4b819c5991fe208aaa96edf142730f1d)"
	.section	".note.GNU-stack","",@progbits
	.addrsig
	.addrsig_sym __hip_cuid_57127cbfe380600b
	.amdgpu_metadata
---
amdhsa.kernels:
  - .args:
      - .actual_access:  read_only
        .address_space:  global
        .offset:         0
        .size:           8
        .value_kind:     global_buffer
      - .offset:         8
        .size:           8
        .value_kind:     by_value
      - .actual_access:  read_only
        .address_space:  global
        .offset:         16
        .size:           8
        .value_kind:     global_buffer
      - .actual_access:  read_only
        .address_space:  global
        .offset:         24
        .size:           8
        .value_kind:     global_buffer
      - .offset:         32
        .size:           8
        .value_kind:     by_value
      - .actual_access:  read_only
        .address_space:  global
        .offset:         40
        .size:           8
        .value_kind:     global_buffer
      - .actual_access:  read_only
        .address_space:  global
        .offset:         48
        .size:           8
        .value_kind:     global_buffer
      - .offset:         56
        .size:           4
        .value_kind:     by_value
      - .actual_access:  read_only
        .address_space:  global
        .offset:         64
        .size:           8
        .value_kind:     global_buffer
      - .actual_access:  read_only
        .address_space:  global
        .offset:         72
        .size:           8
        .value_kind:     global_buffer
      - .address_space:  global
        .offset:         80
        .size:           8
        .value_kind:     global_buffer
    .group_segment_fixed_size: 0
    .kernarg_segment_align: 8
    .kernarg_segment_size: 88
    .language:       OpenCL C
    .language_version:
      - 2
      - 0
    .max_flat_workgroup_size: 120
    .name:           fft_rtc_fwd_len400_factors_4_10_10_wgs_120_tpt_40_halfLds_sp_ip_CI_unitstride_sbrr_R2C_dirReg
    .private_segment_fixed_size: 0
    .sgpr_count:     23
    .sgpr_spill_count: 0
    .symbol:         fft_rtc_fwd_len400_factors_4_10_10_wgs_120_tpt_40_halfLds_sp_ip_CI_unitstride_sbrr_R2C_dirReg.kd
    .uniform_work_group_size: 1
    .uses_dynamic_stack: false
    .vgpr_count:     61
    .vgpr_spill_count: 0
    .wavefront_size: 32
    .workgroup_processor_mode: 1
amdhsa.target:   amdgcn-amd-amdhsa--gfx1030
amdhsa.version:
  - 1
  - 2
...

	.end_amdgpu_metadata
